;; amdgpu-corpus repo=ROCm/flash-attention kind=compiled arch=gfx90a opt=O3
	.text
	.amdgcn_target "amdgcn-amd-amdhsa--gfx90a"
	.amdhsa_code_object_version 6
	.section	.text._ZN7ck_tileL11flush_cacheEv,"axG",@progbits,_ZN7ck_tileL11flush_cacheEv,comdat
	.globl	_ZN7ck_tileL11flush_cacheEv     ; -- Begin function _ZN7ck_tileL11flush_cacheEv
	.p2align	8
	.type	_ZN7ck_tileL11flush_cacheEv,@function
_ZN7ck_tileL11flush_cacheEv:            ; @_ZN7ck_tileL11flush_cacheEv
; %bb.0:
	;;#ASMSTART
	s_icache_inv 
	s_nop 0 
	s_nop 0 
	;; [unrolled: 1-line block ×16, first 2 shown]
	
	;;#ASMEND
	s_endpgm
	.section	.rodata,"a",@progbits
	.p2align	6, 0x0
	.amdhsa_kernel _ZN7ck_tileL11flush_cacheEv
		.amdhsa_group_segment_fixed_size 0
		.amdhsa_private_segment_fixed_size 0
		.amdhsa_kernarg_size 0
		.amdhsa_user_sgpr_count 4
		.amdhsa_user_sgpr_private_segment_buffer 1
		.amdhsa_user_sgpr_dispatch_ptr 0
		.amdhsa_user_sgpr_queue_ptr 0
		.amdhsa_user_sgpr_kernarg_segment_ptr 0
		.amdhsa_user_sgpr_dispatch_id 0
		.amdhsa_user_sgpr_flat_scratch_init 0
		.amdhsa_user_sgpr_kernarg_preload_length 0
		.amdhsa_user_sgpr_kernarg_preload_offset 0
		.amdhsa_user_sgpr_private_segment_size 0
		.amdhsa_uses_dynamic_stack 0
		.amdhsa_system_sgpr_private_segment_wavefront_offset 0
		.amdhsa_system_sgpr_workgroup_id_x 1
		.amdhsa_system_sgpr_workgroup_id_y 0
		.amdhsa_system_sgpr_workgroup_id_z 0
		.amdhsa_system_sgpr_workgroup_info 0
		.amdhsa_system_vgpr_workitem_id 0
		.amdhsa_next_free_vgpr 1
		.amdhsa_next_free_sgpr 0
		.amdhsa_accum_offset 4
		.amdhsa_reserve_vcc 0
		.amdhsa_reserve_flat_scratch 0
		.amdhsa_float_round_mode_32 0
		.amdhsa_float_round_mode_16_64 0
		.amdhsa_float_denorm_mode_32 0
		.amdhsa_float_denorm_mode_16_64 3
		.amdhsa_dx10_clamp 1
		.amdhsa_ieee_mode 1
		.amdhsa_fp16_overflow 0
		.amdhsa_tg_split 0
		.amdhsa_exception_fp_ieee_invalid_op 0
		.amdhsa_exception_fp_denorm_src 0
		.amdhsa_exception_fp_ieee_div_zero 0
		.amdhsa_exception_fp_ieee_overflow 0
		.amdhsa_exception_fp_ieee_underflow 0
		.amdhsa_exception_fp_ieee_inexact 0
		.amdhsa_exception_int_div_zero 0
	.end_amdhsa_kernel
	.section	.text._ZN7ck_tileL11flush_cacheEv,"axG",@progbits,_ZN7ck_tileL11flush_cacheEv,comdat
.Lfunc_end0:
	.size	_ZN7ck_tileL11flush_cacheEv, .Lfunc_end0-_ZN7ck_tileL11flush_cacheEv
                                        ; -- End function
	.section	.AMDGPU.csdata,"",@progbits
; Kernel info:
; codeLenInByte = 140
; NumSgprs: 4
; NumVgprs: 0
; NumAgprs: 0
; TotalNumVgprs: 0
; ScratchSize: 0
; MemoryBound: 0
; FloatMode: 192
; IeeeMode: 1
; LDSByteSize: 0 bytes/workgroup (compile time only)
; SGPRBlocks: 0
; VGPRBlocks: 0
; NumSGPRsForWavesPerEU: 4
; NumVGPRsForWavesPerEU: 1
; AccumOffset: 4
; Occupancy: 8
; WaveLimiterHint : 0
; COMPUTE_PGM_RSRC2:SCRATCH_EN: 0
; COMPUTE_PGM_RSRC2:USER_SGPR: 4
; COMPUTE_PGM_RSRC2:TRAP_HANDLER: 0
; COMPUTE_PGM_RSRC2:TGID_X_EN: 1
; COMPUTE_PGM_RSRC2:TGID_Y_EN: 0
; COMPUTE_PGM_RSRC2:TGID_Z_EN: 0
; COMPUTE_PGM_RSRC2:TIDIG_COMP_CNT: 0
; COMPUTE_PGM_RSRC3_GFX90A:ACCUM_OFFSET: 0
; COMPUTE_PGM_RSRC3_GFX90A:TG_SPLIT: 0
	.section	.text._ZN7ck_tile6kentryINS_6gfx9_tELi2ENS_22FmhaBwdOGradDotOKernelINS_21BlockFmhaBwdOGradDotOINS_36BlockFmhaBwdOGradDotOPipelineProblemIDF16_DF16_fLi64ELi128ELb0ENS_26TileFmhaBwdOGradDotOTraitsILb0ELb0ELi2EEEEENS_33BlockFmhaBwdPipelineDefaultPolicyEEEEEJNSA_30FmhaBwdOGradDotOBatchModeKargsEEEENSt9enable_ifIXnt26kattr_no_packed_fp32_ops_vIT_EEvE4typeEDpT2_,"axG",@progbits,_ZN7ck_tile6kentryINS_6gfx9_tELi2ENS_22FmhaBwdOGradDotOKernelINS_21BlockFmhaBwdOGradDotOINS_36BlockFmhaBwdOGradDotOPipelineProblemIDF16_DF16_fLi64ELi128ELb0ENS_26TileFmhaBwdOGradDotOTraitsILb0ELb0ELi2EEEEENS_33BlockFmhaBwdPipelineDefaultPolicyEEEEEJNSA_30FmhaBwdOGradDotOBatchModeKargsEEEENSt9enable_ifIXnt26kattr_no_packed_fp32_ops_vIT_EEvE4typeEDpT2_,comdat
	.protected	_ZN7ck_tile6kentryINS_6gfx9_tELi2ENS_22FmhaBwdOGradDotOKernelINS_21BlockFmhaBwdOGradDotOINS_36BlockFmhaBwdOGradDotOPipelineProblemIDF16_DF16_fLi64ELi128ELb0ENS_26TileFmhaBwdOGradDotOTraitsILb0ELb0ELi2EEEEENS_33BlockFmhaBwdPipelineDefaultPolicyEEEEEJNSA_30FmhaBwdOGradDotOBatchModeKargsEEEENSt9enable_ifIXnt26kattr_no_packed_fp32_ops_vIT_EEvE4typeEDpT2_ ; -- Begin function _ZN7ck_tile6kentryINS_6gfx9_tELi2ENS_22FmhaBwdOGradDotOKernelINS_21BlockFmhaBwdOGradDotOINS_36BlockFmhaBwdOGradDotOPipelineProblemIDF16_DF16_fLi64ELi128ELb0ENS_26TileFmhaBwdOGradDotOTraitsILb0ELb0ELi2EEEEENS_33BlockFmhaBwdPipelineDefaultPolicyEEEEEJNSA_30FmhaBwdOGradDotOBatchModeKargsEEEENSt9enable_ifIXnt26kattr_no_packed_fp32_ops_vIT_EEvE4typeEDpT2_
	.globl	_ZN7ck_tile6kentryINS_6gfx9_tELi2ENS_22FmhaBwdOGradDotOKernelINS_21BlockFmhaBwdOGradDotOINS_36BlockFmhaBwdOGradDotOPipelineProblemIDF16_DF16_fLi64ELi128ELb0ENS_26TileFmhaBwdOGradDotOTraitsILb0ELb0ELi2EEEEENS_33BlockFmhaBwdPipelineDefaultPolicyEEEEEJNSA_30FmhaBwdOGradDotOBatchModeKargsEEEENSt9enable_ifIXnt26kattr_no_packed_fp32_ops_vIT_EEvE4typeEDpT2_
	.p2align	8
	.type	_ZN7ck_tile6kentryINS_6gfx9_tELi2ENS_22FmhaBwdOGradDotOKernelINS_21BlockFmhaBwdOGradDotOINS_36BlockFmhaBwdOGradDotOPipelineProblemIDF16_DF16_fLi64ELi128ELb0ENS_26TileFmhaBwdOGradDotOTraitsILb0ELb0ELi2EEEEENS_33BlockFmhaBwdPipelineDefaultPolicyEEEEEJNSA_30FmhaBwdOGradDotOBatchModeKargsEEEENSt9enable_ifIXnt26kattr_no_packed_fp32_ops_vIT_EEvE4typeEDpT2_,@function
_ZN7ck_tile6kentryINS_6gfx9_tELi2ENS_22FmhaBwdOGradDotOKernelINS_21BlockFmhaBwdOGradDotOINS_36BlockFmhaBwdOGradDotOPipelineProblemIDF16_DF16_fLi64ELi128ELb0ENS_26TileFmhaBwdOGradDotOTraitsILb0ELb0ELi2EEEEENS_33BlockFmhaBwdPipelineDefaultPolicyEEEEEJNSA_30FmhaBwdOGradDotOBatchModeKargsEEEENSt9enable_ifIXnt26kattr_no_packed_fp32_ops_vIT_EEvE4typeEDpT2_: ; @_ZN7ck_tile6kentryINS_6gfx9_tELi2ENS_22FmhaBwdOGradDotOKernelINS_21BlockFmhaBwdOGradDotOINS_36BlockFmhaBwdOGradDotOPipelineProblemIDF16_DF16_fLi64ELi128ELb0ENS_26TileFmhaBwdOGradDotOTraitsILb0ELb0ELi2EEEEENS_33BlockFmhaBwdPipelineDefaultPolicyEEEEEJNSA_30FmhaBwdOGradDotOBatchModeKargsEEEENSt9enable_ifIXnt26kattr_no_packed_fp32_ops_vIT_EEvE4typeEDpT2_
; %bb.0:
	s_load_dwordx4 s[0:3], s[4:5], 0x38
	s_load_dwordx4 s[20:23], s[4:5], 0x0
	s_load_dwordx2 s[10:11], s[4:5], 0x10
	s_load_dwordx8 s[12:19], s[4:5], 0x18
	s_lshl_b32 s6, s6, 6
	s_waitcnt lgkmcnt(0)
	s_mul_hi_i32 s5, s1, s8
	s_mul_i32 s4, s1, s8
	s_mul_hi_i32 s25, s0, s8
	s_mul_i32 s24, s0, s8
	;; [unrolled: 2-line block ×3, first 2 shown]
	s_lshl_b64 s[0:1], s[0:1], 1
	s_mul_hi_i32 s3, s2, s8
	s_mul_i32 s2, s2, s8
	s_add_u32 s8, s20, s0
	s_addc_u32 s9, s21, s1
	s_lshl_b64 s[0:1], s[4:5], 1
	s_add_u32 s0, s8, s0
	s_mul_hi_i32 s5, s17, s7
	s_mul_i32 s4, s17, s7
	s_addc_u32 s1, s9, s1
	s_lshl_b64 s[4:5], s[4:5], 1
	s_add_u32 s8, s22, s4
	s_addc_u32 s9, s23, s5
	s_lshl_b64 s[4:5], s[24:25], 1
	s_add_u32 s8, s8, s4
	s_addc_u32 s9, s9, s5
	s_mul_hi_i32 s5, s19, s7
	s_mul_i32 s4, s19, s7
	s_lshl_b64 s[4:5], s[4:5], 2
	s_add_u32 s4, s10, s4
	s_addc_u32 s5, s11, s5
	s_lshl_b64 s[2:3], s[2:3], 2
	s_add_u32 s4, s4, s2
	s_addc_u32 s5, s5, s3
	s_add_i32 s2, s13, -1
	s_add_u32 s7, 0, 0
	s_addc_u32 s7, s14, -1
	s_mul_i32 s3, s16, s2
	s_add_i32 s7, s7, 1
	s_mul_i32 s2, s15, s2
	v_mbcnt_lo_u32_b32 v0, -1, 0
	s_add_i32 s3, s3, s7
	s_add_i32 s7, s2, s7
	v_mbcnt_hi_u32_b32 v0, -1, v0
	s_add_i32 s2, s6, 0
	v_add_u32_e32 v58, s2, v0
	v_mul_lo_u32 v0, s16, v58
	v_lshlrev_b32_e32 v56, 1, v0
	s_lshl_b32 s2, s3, 1
	s_mov_b32 s3, 0x20000
	v_mul_lo_u32 v0, s15, v58
	v_lshlrev_b32_e32 v57, 1, v0
	s_lshl_b32 s10, s7, 1
	s_mov_b32 s11, s3
	buffer_load_dwordx4 v[0:3], v57, s[8:11], 0 offen
	buffer_load_dwordx4 v[4:7], v56, s[0:3], 0 offen
	buffer_load_dwordx4 v[8:11], v56, s[0:3], 0 offen offset:16
	buffer_load_dwordx4 v[12:15], v57, s[8:11], 0 offen offset:16
	;; [unrolled: 1-line block ×12, first 2 shown]
	s_lshl_b32 s6, s13, 2
	s_mov_b32 s7, s3
	s_waitcnt vmcnt(12)
	v_fma_mix_f32 v59, v4, v0, 0 op_sel_hi:[1,1,0]
	v_fma_mix_f32 v0, v4, v0, v59 op_sel:[1,1,0] op_sel_hi:[1,1,0]
	v_fma_mix_f32 v0, v5, v1, v0 op_sel_hi:[1,1,0]
	v_fma_mix_f32 v0, v5, v1, v0 op_sel:[1,1,0] op_sel_hi:[1,1,0]
	;; [unrolled: 2-line block ×4, first 2 shown]
	buffer_load_dwordx4 v[0:3], v56, s[0:3], 0 offen offset:112
	buffer_load_dwordx4 v[4:7], v57, s[8:11], 0 offen offset:112
	s_waitcnt vmcnt(12)
	v_fma_mix_f32 v59, v8, v12, v59 op_sel_hi:[1,1,0]
	v_fma_mix_f32 v8, v8, v12, v59 op_sel:[1,1,0] op_sel_hi:[1,1,0]
	v_fma_mix_f32 v8, v9, v13, v8 op_sel_hi:[1,1,0]
	v_fma_mix_f32 v8, v9, v13, v8 op_sel:[1,1,0] op_sel_hi:[1,1,0]
	;; [unrolled: 2-line block ×4, first 2 shown]
	buffer_load_dwordx4 v[8:11], v57, s[8:11], 0 offen offset:128
	buffer_load_dwordx4 v[12:15], v56, s[0:3], 0 offen offset:128
	s_waitcnt vmcnt(12)
	v_fma_mix_f32 v59, v20, v16, v59 op_sel_hi:[1,1,0]
	v_fma_mix_f32 v16, v20, v16, v59 op_sel:[1,1,0] op_sel_hi:[1,1,0]
	v_fma_mix_f32 v16, v21, v17, v16 op_sel_hi:[1,1,0]
	v_fma_mix_f32 v16, v21, v17, v16 op_sel:[1,1,0] op_sel_hi:[1,1,0]
	v_fma_mix_f32 v16, v22, v18, v16 op_sel_hi:[1,1,0]
	v_fma_mix_f32 v16, v22, v18, v16 op_sel:[1,1,0] op_sel_hi:[1,1,0]
	v_fma_mix_f32 v16, v23, v19, v16 op_sel_hi:[1,1,0]
	v_fma_mix_f32 v20, v23, v19, v16 op_sel:[1,1,0] op_sel_hi:[1,1,0]
	s_waitcnt vmcnt(10)
	v_fma_mix_f32 v20, v24, v28, v20 op_sel_hi:[1,1,0]
	v_fma_mix_f32 v20, v24, v28, v20 op_sel:[1,1,0] op_sel_hi:[1,1,0]
	v_fma_mix_f32 v20, v25, v29, v20 op_sel_hi:[1,1,0]
	v_fma_mix_f32 v20, v25, v29, v20 op_sel:[1,1,0] op_sel_hi:[1,1,0]
	v_fma_mix_f32 v20, v26, v30, v20 op_sel_hi:[1,1,0]
	v_fma_mix_f32 v20, v26, v30, v20 op_sel:[1,1,0] op_sel_hi:[1,1,0]
	v_fma_mix_f32 v20, v27, v31, v20 op_sel_hi:[1,1,0]
	v_fma_mix_f32 v59, v27, v31, v20 op_sel:[1,1,0] op_sel_hi:[1,1,0]
	;; [unrolled: 9-line block ×3, first 2 shown]
	s_waitcnt vmcnt(6)
	v_fma_mix_f32 v36, v40, v44, v36 op_sel_hi:[1,1,0]
	v_fma_mix_f32 v36, v40, v44, v36 op_sel:[1,1,0] op_sel_hi:[1,1,0]
	buffer_load_dwordx4 v[16:19], v56, s[0:3], 0 offen offset:144
	buffer_load_dwordx4 v[20:23], v56, s[0:3], 0 offen offset:224
	;; [unrolled: 1-line block ×4, first 2 shown]
	v_fma_mix_f32 v36, v41, v45, v36 op_sel_hi:[1,1,0]
	v_fma_mix_f32 v40, v41, v45, v36 op_sel:[1,1,0] op_sel_hi:[1,1,0]
	v_fma_mix_f32 v40, v42, v46, v40 op_sel_hi:[1,1,0]
	v_fma_mix_f32 v40, v42, v46, v40 op_sel:[1,1,0] op_sel_hi:[1,1,0]
	;; [unrolled: 2-line block ×3, first 2 shown]
	s_waitcnt vmcnt(8)
	v_fma_mix_f32 v44, v52, v48, v44 op_sel_hi:[1,1,0]
	buffer_load_dwordx4 v[32:35], v57, s[8:11], 0 offen offset:160
	buffer_load_dwordx4 v[36:39], v57, s[8:11], 0 offen offset:224
	v_fma_mix_f32 v44, v52, v48, v44 op_sel:[1,1,0] op_sel_hi:[1,1,0]
	v_fma_mix_f32 v44, v53, v49, v44 op_sel_hi:[1,1,0]
	v_fma_mix_f32 v44, v53, v49, v44 op_sel:[1,1,0] op_sel_hi:[1,1,0]
	v_fma_mix_f32 v44, v54, v50, v44 op_sel_hi:[1,1,0]
	v_fma_mix_f32 v48, v54, v50, v44 op_sel:[1,1,0] op_sel_hi:[1,1,0]
	buffer_load_dwordx4 v[44:47], v56, s[0:3], 0 offen offset:160
	v_fma_mix_f32 v48, v55, v51, v48 op_sel_hi:[1,1,0]
	v_fma_mix_f32 v59, v55, v51, v48 op_sel:[1,1,0] op_sel_hi:[1,1,0]
	buffer_load_dwordx4 v[40:43], v57, s[8:11], 0 offen offset:240
	buffer_load_dwordx4 v[48:51], v56, s[0:3], 0 offen offset:176
	;; [unrolled: 1-line block ×3, first 2 shown]
	s_waitcnt vmcnt(12)
	v_fma_mix_f32 v59, v0, v4, v59 op_sel_hi:[1,1,0]
	v_fma_mix_f32 v0, v0, v4, v59 op_sel:[1,1,0] op_sel_hi:[1,1,0]
	v_fma_mix_f32 v0, v1, v5, v0 op_sel_hi:[1,1,0]
	v_fma_mix_f32 v0, v1, v5, v0 op_sel:[1,1,0] op_sel_hi:[1,1,0]
	;; [unrolled: 2-line block ×4, first 2 shown]
	buffer_load_dwordx4 v[0:3], v57, s[8:11], 0 offen offset:192
	s_waitcnt vmcnt(11)
	v_fma_mix_f32 v4, v12, v8, v4 op_sel_hi:[1,1,0]
	v_fma_mix_f32 v8, v12, v8, v4 op_sel:[1,1,0] op_sel_hi:[1,1,0]
	buffer_load_dwordx4 v[4:7], v56, s[0:3], 0 offen offset:192
	v_fma_mix_f32 v8, v13, v9, v8 op_sel_hi:[1,1,0]
	v_fma_mix_f32 v8, v13, v9, v8 op_sel:[1,1,0] op_sel_hi:[1,1,0]
	v_fma_mix_f32 v8, v14, v10, v8 op_sel_hi:[1,1,0]
	v_fma_mix_f32 v8, v14, v10, v8 op_sel:[1,1,0] op_sel_hi:[1,1,0]
	;; [unrolled: 2-line block ×3, first 2 shown]
	buffer_load_dwordx4 v[8:11], v56, s[0:3], 0 offen offset:208
	buffer_load_dwordx4 v[12:15], v57, s[8:11], 0 offen offset:208
	s_waitcnt vmcnt(12)
	v_cvt_f32_f16_e32 v56, v22
	v_cvt_f32_f16_sdwa v57, v22 dst_sel:DWORD dst_unused:UNUSED_PAD src0_sel:WORD_1
	s_waitcnt vmcnt(10)
	v_fma_mix_f32 v22, v16, v28, v59 op_sel_hi:[1,1,0]
	v_fma_mix_f32 v16, v16, v28, v22 op_sel:[1,1,0] op_sel_hi:[1,1,0]
	v_fma_mix_f32 v16, v17, v29, v16 op_sel_hi:[1,1,0]
	v_fma_mix_f32 v16, v17, v29, v16 op_sel:[1,1,0] op_sel_hi:[1,1,0]
	;; [unrolled: 2-line block ×4, first 2 shown]
	v_cvt_f32_f16_e32 v18, v23
	v_cvt_f32_f16_sdwa v19, v23 dst_sel:DWORD dst_unused:UNUSED_PAD src0_sel:WORD_1
	s_waitcnt vmcnt(8)
	v_cvt_f32_f16_e32 v22, v39
	v_cvt_f32_f16_sdwa v23, v39 dst_sel:DWORD dst_unused:UNUSED_PAD src0_sel:WORD_1
	v_cvt_f32_f16_e32 v16, v38
	v_cvt_f32_f16_sdwa v17, v38 dst_sel:DWORD dst_unused:UNUSED_PAD src0_sel:WORD_1
	v_cvt_f32_f16_e32 v28, v24
	v_pk_mul_f32 v[18:19], v[18:19], v[22:23]
	s_waitcnt vmcnt(7)
	v_fma_mix_f32 v22, v44, v32, v59 op_sel_hi:[1,1,0]
	v_fma_mix_f32 v22, v44, v32, v22 op_sel:[1,1,0] op_sel_hi:[1,1,0]
	v_fma_mix_f32 v22, v45, v33, v22 op_sel_hi:[1,1,0]
	v_fma_mix_f32 v22, v45, v33, v22 op_sel:[1,1,0] op_sel_hi:[1,1,0]
	;; [unrolled: 2-line block ×4, first 2 shown]
	s_waitcnt vmcnt(4)
	v_fma_mix_f32 v22, v48, v52, v22 op_sel_hi:[1,1,0]
	v_fma_mix_f32 v22, v48, v52, v22 op_sel:[1,1,0] op_sel_hi:[1,1,0]
	v_fma_mix_f32 v22, v49, v53, v22 op_sel_hi:[1,1,0]
	v_fma_mix_f32 v22, v49, v53, v22 op_sel:[1,1,0] op_sel_hi:[1,1,0]
	;; [unrolled: 2-line block ×4, first 2 shown]
	v_pk_mul_f32 v[16:17], v[56:57], v[16:17]
	v_cvt_f32_f16_sdwa v29, v24 dst_sel:DWORD dst_unused:UNUSED_PAD src0_sel:WORD_1
	v_cvt_f32_f16_e32 v30, v40
	v_cvt_f32_f16_sdwa v31, v40 dst_sel:DWORD dst_unused:UNUSED_PAD src0_sel:WORD_1
	s_waitcnt vmcnt(2)
	v_fma_mix_f32 v22, v4, v0, v22 op_sel_hi:[1,1,0]
	v_fma_mix_f32 v0, v4, v0, v22 op_sel:[1,1,0] op_sel_hi:[1,1,0]
	v_fma_mix_f32 v0, v5, v1, v0 op_sel_hi:[1,1,0]
	v_fma_mix_f32 v0, v5, v1, v0 op_sel:[1,1,0] op_sel_hi:[1,1,0]
	;; [unrolled: 2-line block ×4, first 2 shown]
	s_waitcnt vmcnt(0)
	v_fma_mix_f32 v0, v8, v12, v0 op_sel_hi:[1,1,0]
	v_fma_mix_f32 v0, v8, v12, v0 op_sel:[1,1,0] op_sel_hi:[1,1,0]
	v_fma_mix_f32 v0, v9, v13, v0 op_sel_hi:[1,1,0]
	v_fma_mix_f32 v0, v9, v13, v0 op_sel:[1,1,0] op_sel_hi:[1,1,0]
	;; [unrolled: 2-line block ×6, first 2 shown]
	v_add_f32_e32 v0, v16, v0
	v_add_f32_e32 v0, v17, v0
	;; [unrolled: 1-line block ×4, first 2 shown]
	v_cvt_f32_f16_e32 v0, v25
	v_cvt_f32_f16_sdwa v1, v25 dst_sel:DWORD dst_unused:UNUSED_PAD src0_sel:WORD_1
	v_cvt_f32_f16_e32 v2, v41
	v_cvt_f32_f16_sdwa v3, v41 dst_sel:DWORD dst_unused:UNUSED_PAD src0_sel:WORD_1
	v_pk_mul_f32 v[4:5], v[28:29], v[30:31]
	v_add_f32_e32 v4, v4, v6
	v_add_f32_e32 v4, v5, v4
	v_pk_mul_f32 v[0:1], v[0:1], v[2:3]
	v_add_f32_e32 v0, v0, v4
	v_add_f32_e32 v8, v1, v0
	v_cvt_f32_f16_e32 v0, v26
	v_cvt_f32_f16_sdwa v1, v26 dst_sel:DWORD dst_unused:UNUSED_PAD src0_sel:WORD_1
	v_cvt_f32_f16_e32 v2, v42
	v_cvt_f32_f16_sdwa v3, v42 dst_sel:DWORD dst_unused:UNUSED_PAD src0_sel:WORD_1
	;; [unrolled: 2-line block ×4, first 2 shown]
	v_pk_mul_f32 v[0:1], v[0:1], v[2:3]
	v_add_f32_e32 v0, v0, v8
	v_add_f32_e32 v2, v1, v0
	v_pk_mul_f32 v[0:1], v[4:5], v[6:7]
	v_add_f32_e32 v0, v0, v2
	v_add_f32_e32 v0, v1, v0
	v_mul_f32_e32 v0, s12, v0
	v_lshlrev_b32_e32 v1, 2, v58
	buffer_store_dword v0, v1, s[4:7], 0 offen
	s_endpgm
	.section	.rodata,"a",@progbits
	.p2align	6, 0x0
	.amdhsa_kernel _ZN7ck_tile6kentryINS_6gfx9_tELi2ENS_22FmhaBwdOGradDotOKernelINS_21BlockFmhaBwdOGradDotOINS_36BlockFmhaBwdOGradDotOPipelineProblemIDF16_DF16_fLi64ELi128ELb0ENS_26TileFmhaBwdOGradDotOTraitsILb0ELb0ELi2EEEEENS_33BlockFmhaBwdPipelineDefaultPolicyEEEEEJNSA_30FmhaBwdOGradDotOBatchModeKargsEEEENSt9enable_ifIXnt26kattr_no_packed_fp32_ops_vIT_EEvE4typeEDpT2_
		.amdhsa_group_segment_fixed_size 0
		.amdhsa_private_segment_fixed_size 0
		.amdhsa_kernarg_size 72
		.amdhsa_user_sgpr_count 6
		.amdhsa_user_sgpr_private_segment_buffer 1
		.amdhsa_user_sgpr_dispatch_ptr 0
		.amdhsa_user_sgpr_queue_ptr 0
		.amdhsa_user_sgpr_kernarg_segment_ptr 1
		.amdhsa_user_sgpr_dispatch_id 0
		.amdhsa_user_sgpr_flat_scratch_init 0
		.amdhsa_user_sgpr_kernarg_preload_length 0
		.amdhsa_user_sgpr_kernarg_preload_offset 0
		.amdhsa_user_sgpr_private_segment_size 0
		.amdhsa_uses_dynamic_stack 0
		.amdhsa_system_sgpr_private_segment_wavefront_offset 0
		.amdhsa_system_sgpr_workgroup_id_x 1
		.amdhsa_system_sgpr_workgroup_id_y 1
		.amdhsa_system_sgpr_workgroup_id_z 1
		.amdhsa_system_sgpr_workgroup_info 0
		.amdhsa_system_vgpr_workitem_id 0
		.amdhsa_next_free_vgpr 60
		.amdhsa_next_free_sgpr 26
		.amdhsa_accum_offset 60
		.amdhsa_reserve_vcc 0
		.amdhsa_reserve_flat_scratch 0
		.amdhsa_float_round_mode_32 0
		.amdhsa_float_round_mode_16_64 0
		.amdhsa_float_denorm_mode_32 0
		.amdhsa_float_denorm_mode_16_64 3
		.amdhsa_dx10_clamp 1
		.amdhsa_ieee_mode 1
		.amdhsa_fp16_overflow 0
		.amdhsa_tg_split 0
		.amdhsa_exception_fp_ieee_invalid_op 0
		.amdhsa_exception_fp_denorm_src 0
		.amdhsa_exception_fp_ieee_div_zero 0
		.amdhsa_exception_fp_ieee_overflow 0
		.amdhsa_exception_fp_ieee_underflow 0
		.amdhsa_exception_fp_ieee_inexact 0
		.amdhsa_exception_int_div_zero 0
	.end_amdhsa_kernel
	.section	.text._ZN7ck_tile6kentryINS_6gfx9_tELi2ENS_22FmhaBwdOGradDotOKernelINS_21BlockFmhaBwdOGradDotOINS_36BlockFmhaBwdOGradDotOPipelineProblemIDF16_DF16_fLi64ELi128ELb0ENS_26TileFmhaBwdOGradDotOTraitsILb0ELb0ELi2EEEEENS_33BlockFmhaBwdPipelineDefaultPolicyEEEEEJNSA_30FmhaBwdOGradDotOBatchModeKargsEEEENSt9enable_ifIXnt26kattr_no_packed_fp32_ops_vIT_EEvE4typeEDpT2_,"axG",@progbits,_ZN7ck_tile6kentryINS_6gfx9_tELi2ENS_22FmhaBwdOGradDotOKernelINS_21BlockFmhaBwdOGradDotOINS_36BlockFmhaBwdOGradDotOPipelineProblemIDF16_DF16_fLi64ELi128ELb0ENS_26TileFmhaBwdOGradDotOTraitsILb0ELb0ELi2EEEEENS_33BlockFmhaBwdPipelineDefaultPolicyEEEEEJNSA_30FmhaBwdOGradDotOBatchModeKargsEEEENSt9enable_ifIXnt26kattr_no_packed_fp32_ops_vIT_EEvE4typeEDpT2_,comdat
.Lfunc_end1:
	.size	_ZN7ck_tile6kentryINS_6gfx9_tELi2ENS_22FmhaBwdOGradDotOKernelINS_21BlockFmhaBwdOGradDotOINS_36BlockFmhaBwdOGradDotOPipelineProblemIDF16_DF16_fLi64ELi128ELb0ENS_26TileFmhaBwdOGradDotOTraitsILb0ELb0ELi2EEEEENS_33BlockFmhaBwdPipelineDefaultPolicyEEEEEJNSA_30FmhaBwdOGradDotOBatchModeKargsEEEENSt9enable_ifIXnt26kattr_no_packed_fp32_ops_vIT_EEvE4typeEDpT2_, .Lfunc_end1-_ZN7ck_tile6kentryINS_6gfx9_tELi2ENS_22FmhaBwdOGradDotOKernelINS_21BlockFmhaBwdOGradDotOINS_36BlockFmhaBwdOGradDotOPipelineProblemIDF16_DF16_fLi64ELi128ELb0ENS_26TileFmhaBwdOGradDotOTraitsILb0ELb0ELi2EEEEENS_33BlockFmhaBwdPipelineDefaultPolicyEEEEEJNSA_30FmhaBwdOGradDotOBatchModeKargsEEEENSt9enable_ifIXnt26kattr_no_packed_fp32_ops_vIT_EEvE4typeEDpT2_
                                        ; -- End function
	.section	.AMDGPU.csdata,"",@progbits
; Kernel info:
; codeLenInByte = 1776
; NumSgprs: 30
; NumVgprs: 60
; NumAgprs: 0
; TotalNumVgprs: 60
; ScratchSize: 0
; MemoryBound: 0
; FloatMode: 192
; IeeeMode: 1
; LDSByteSize: 0 bytes/workgroup (compile time only)
; SGPRBlocks: 3
; VGPRBlocks: 7
; NumSGPRsForWavesPerEU: 30
; NumVGPRsForWavesPerEU: 60
; AccumOffset: 60
; Occupancy: 8
; WaveLimiterHint : 0
; COMPUTE_PGM_RSRC2:SCRATCH_EN: 0
; COMPUTE_PGM_RSRC2:USER_SGPR: 6
; COMPUTE_PGM_RSRC2:TRAP_HANDLER: 0
; COMPUTE_PGM_RSRC2:TGID_X_EN: 1
; COMPUTE_PGM_RSRC2:TGID_Y_EN: 1
; COMPUTE_PGM_RSRC2:TGID_Z_EN: 1
; COMPUTE_PGM_RSRC2:TIDIG_COMP_CNT: 0
; COMPUTE_PGM_RSRC3_GFX90A:ACCUM_OFFSET: 14
; COMPUTE_PGM_RSRC3_GFX90A:TG_SPLIT: 0
	.text
	.p2alignl 6, 3212836864
	.fill 256, 4, 3212836864
	.type	__hip_cuid_eed4c334465f8c39,@object ; @__hip_cuid_eed4c334465f8c39
	.section	.bss,"aw",@nobits
	.globl	__hip_cuid_eed4c334465f8c39
__hip_cuid_eed4c334465f8c39:
	.byte	0                               ; 0x0
	.size	__hip_cuid_eed4c334465f8c39, 1

	.ident	"AMD clang version 19.0.0git (https://github.com/RadeonOpenCompute/llvm-project roc-6.4.0 25133 c7fe45cf4b819c5991fe208aaa96edf142730f1d)"
	.section	".note.GNU-stack","",@progbits
	.addrsig
	.addrsig_sym __hip_cuid_eed4c334465f8c39
	.amdgpu_metadata
---
amdhsa.kernels:
  - .agpr_count:     0
    .args:           []
    .group_segment_fixed_size: 0
    .kernarg_segment_align: 4
    .kernarg_segment_size: 0
    .language:       OpenCL C
    .language_version:
      - 2
      - 0
    .max_flat_workgroup_size: 1024
    .name:           _ZN7ck_tileL11flush_cacheEv
    .private_segment_fixed_size: 0
    .sgpr_count:     4
    .sgpr_spill_count: 0
    .symbol:         _ZN7ck_tileL11flush_cacheEv.kd
    .uses_dynamic_stack: false
    .vgpr_count:     0
    .vgpr_spill_count: 0
    .wavefront_size: 64
  - .agpr_count:     0
    .args:
      - .offset:         0
        .size:           72
        .value_kind:     by_value
    .group_segment_fixed_size: 0
    .kernarg_segment_align: 8
    .kernarg_segment_size: 72
    .language:       OpenCL C
    .language_version:
      - 2
      - 0
    .max_flat_workgroup_size: 64
    .name:           _ZN7ck_tile6kentryINS_6gfx9_tELi2ENS_22FmhaBwdOGradDotOKernelINS_21BlockFmhaBwdOGradDotOINS_36BlockFmhaBwdOGradDotOPipelineProblemIDF16_DF16_fLi64ELi128ELb0ENS_26TileFmhaBwdOGradDotOTraitsILb0ELb0ELi2EEEEENS_33BlockFmhaBwdPipelineDefaultPolicyEEEEEJNSA_30FmhaBwdOGradDotOBatchModeKargsEEEENSt9enable_ifIXnt26kattr_no_packed_fp32_ops_vIT_EEvE4typeEDpT2_
    .private_segment_fixed_size: 0
    .sgpr_count:     30
    .sgpr_spill_count: 0
    .symbol:         _ZN7ck_tile6kentryINS_6gfx9_tELi2ENS_22FmhaBwdOGradDotOKernelINS_21BlockFmhaBwdOGradDotOINS_36BlockFmhaBwdOGradDotOPipelineProblemIDF16_DF16_fLi64ELi128ELb0ENS_26TileFmhaBwdOGradDotOTraitsILb0ELb0ELi2EEEEENS_33BlockFmhaBwdPipelineDefaultPolicyEEEEEJNSA_30FmhaBwdOGradDotOBatchModeKargsEEEENSt9enable_ifIXnt26kattr_no_packed_fp32_ops_vIT_EEvE4typeEDpT2_.kd
    .uses_dynamic_stack: false
    .vgpr_count:     60
    .vgpr_spill_count: 0
    .wavefront_size: 64
amdhsa.target:   amdgcn-amd-amdhsa--gfx90a
amdhsa.version:
  - 1
  - 2
...

	.end_amdgpu_metadata
